;; amdgpu-corpus repo=ROCm/rocFFT kind=compiled arch=gfx1030 opt=O3
	.text
	.amdgcn_target "amdgcn-amd-amdhsa--gfx1030"
	.amdhsa_code_object_version 6
	.protected	fft_rtc_fwd_len208_factors_13_16_wgs_64_tpt_16_halfLds_dp_op_CI_CI_unitstride_sbrr_C2R_dirReg ; -- Begin function fft_rtc_fwd_len208_factors_13_16_wgs_64_tpt_16_halfLds_dp_op_CI_CI_unitstride_sbrr_C2R_dirReg
	.globl	fft_rtc_fwd_len208_factors_13_16_wgs_64_tpt_16_halfLds_dp_op_CI_CI_unitstride_sbrr_C2R_dirReg
	.p2align	8
	.type	fft_rtc_fwd_len208_factors_13_16_wgs_64_tpt_16_halfLds_dp_op_CI_CI_unitstride_sbrr_C2R_dirReg,@function
fft_rtc_fwd_len208_factors_13_16_wgs_64_tpt_16_halfLds_dp_op_CI_CI_unitstride_sbrr_C2R_dirReg: ; @fft_rtc_fwd_len208_factors_13_16_wgs_64_tpt_16_halfLds_dp_op_CI_CI_unitstride_sbrr_C2R_dirReg
; %bb.0:
	s_clause 0x2
	s_load_dwordx4 s[12:15], s[4:5], 0x0
	s_load_dwordx4 s[8:11], s[4:5], 0x58
	;; [unrolled: 1-line block ×3, first 2 shown]
	v_lshrrev_b32_e32 v7, 4, v0
	v_mov_b32_e32 v3, 0
	v_mov_b32_e32 v1, 0
	;; [unrolled: 1-line block ×3, first 2 shown]
	v_lshl_or_b32 v5, s6, 2, v7
	v_mov_b32_e32 v6, v3
	s_waitcnt lgkmcnt(0)
	v_cmp_lt_u64_e64 s0, s[14:15], 2
	s_and_b32 vcc_lo, exec_lo, s0
	s_cbranch_vccnz .LBB0_8
; %bb.1:
	s_load_dwordx2 s[0:1], s[4:5], 0x10
	v_mov_b32_e32 v1, 0
	v_mov_b32_e32 v2, 0
	s_add_u32 s2, s18, 8
	s_addc_u32 s3, s19, 0
	s_add_u32 s6, s16, 8
	s_addc_u32 s7, s17, 0
	v_mov_b32_e32 v65, v2
	v_mov_b32_e32 v64, v1
	s_mov_b64 s[22:23], 1
	s_waitcnt lgkmcnt(0)
	s_add_u32 s20, s0, 8
	s_addc_u32 s21, s1, 0
.LBB0_2:                                ; =>This Inner Loop Header: Depth=1
	s_load_dwordx2 s[24:25], s[20:21], 0x0
                                        ; implicit-def: $vgpr68_vgpr69
	s_mov_b32 s0, exec_lo
	s_waitcnt lgkmcnt(0)
	v_or_b32_e32 v4, s25, v6
	v_cmpx_ne_u64_e32 0, v[3:4]
	s_xor_b32 s1, exec_lo, s0
	s_cbranch_execz .LBB0_4
; %bb.3:                                ;   in Loop: Header=BB0_2 Depth=1
	v_cvt_f32_u32_e32 v4, s24
	v_cvt_f32_u32_e32 v8, s25
	s_sub_u32 s0, 0, s24
	s_subb_u32 s26, 0, s25
	v_fmac_f32_e32 v4, 0x4f800000, v8
	v_rcp_f32_e32 v4, v4
	v_mul_f32_e32 v4, 0x5f7ffffc, v4
	v_mul_f32_e32 v8, 0x2f800000, v4
	v_trunc_f32_e32 v8, v8
	v_fmac_f32_e32 v4, 0xcf800000, v8
	v_cvt_u32_f32_e32 v8, v8
	v_cvt_u32_f32_e32 v4, v4
	v_mul_lo_u32 v9, s0, v8
	v_mul_hi_u32 v10, s0, v4
	v_mul_lo_u32 v11, s26, v4
	v_add_nc_u32_e32 v9, v10, v9
	v_mul_lo_u32 v10, s0, v4
	v_add_nc_u32_e32 v9, v9, v11
	v_mul_hi_u32 v11, v4, v10
	v_mul_lo_u32 v12, v4, v9
	v_mul_hi_u32 v13, v4, v9
	v_mul_hi_u32 v14, v8, v10
	v_mul_lo_u32 v10, v8, v10
	v_mul_hi_u32 v15, v8, v9
	v_mul_lo_u32 v9, v8, v9
	v_add_co_u32 v11, vcc_lo, v11, v12
	v_add_co_ci_u32_e32 v12, vcc_lo, 0, v13, vcc_lo
	v_add_co_u32 v10, vcc_lo, v11, v10
	v_add_co_ci_u32_e32 v10, vcc_lo, v12, v14, vcc_lo
	v_add_co_ci_u32_e32 v11, vcc_lo, 0, v15, vcc_lo
	v_add_co_u32 v9, vcc_lo, v10, v9
	v_add_co_ci_u32_e32 v10, vcc_lo, 0, v11, vcc_lo
	v_add_co_u32 v4, vcc_lo, v4, v9
	v_add_co_ci_u32_e32 v8, vcc_lo, v8, v10, vcc_lo
	v_mul_hi_u32 v9, s0, v4
	v_mul_lo_u32 v11, s26, v4
	v_mul_lo_u32 v10, s0, v8
	v_add_nc_u32_e32 v9, v9, v10
	v_mul_lo_u32 v10, s0, v4
	v_add_nc_u32_e32 v9, v9, v11
	v_mul_hi_u32 v11, v4, v10
	v_mul_lo_u32 v12, v4, v9
	v_mul_hi_u32 v13, v4, v9
	v_mul_hi_u32 v14, v8, v10
	v_mul_lo_u32 v10, v8, v10
	v_mul_hi_u32 v15, v8, v9
	v_mul_lo_u32 v9, v8, v9
	v_add_co_u32 v11, vcc_lo, v11, v12
	v_add_co_ci_u32_e32 v12, vcc_lo, 0, v13, vcc_lo
	v_add_co_u32 v10, vcc_lo, v11, v10
	v_add_co_ci_u32_e32 v10, vcc_lo, v12, v14, vcc_lo
	v_add_co_ci_u32_e32 v11, vcc_lo, 0, v15, vcc_lo
	v_add_co_u32 v9, vcc_lo, v10, v9
	v_add_co_ci_u32_e32 v10, vcc_lo, 0, v11, vcc_lo
	v_add_co_u32 v4, vcc_lo, v4, v9
	v_add_co_ci_u32_e32 v12, vcc_lo, v8, v10, vcc_lo
	v_mul_hi_u32 v14, v5, v4
	v_mad_u64_u32 v[10:11], null, v6, v4, 0
	v_mad_u64_u32 v[8:9], null, v5, v12, 0
	;; [unrolled: 1-line block ×3, first 2 shown]
	v_add_co_u32 v4, vcc_lo, v14, v8
	v_add_co_ci_u32_e32 v8, vcc_lo, 0, v9, vcc_lo
	v_add_co_u32 v4, vcc_lo, v4, v10
	v_add_co_ci_u32_e32 v4, vcc_lo, v8, v11, vcc_lo
	v_add_co_ci_u32_e32 v8, vcc_lo, 0, v13, vcc_lo
	v_add_co_u32 v4, vcc_lo, v4, v12
	v_add_co_ci_u32_e32 v10, vcc_lo, 0, v8, vcc_lo
	v_mul_lo_u32 v11, s25, v4
	v_mad_u64_u32 v[8:9], null, s24, v4, 0
	v_mul_lo_u32 v12, s24, v10
	v_sub_co_u32 v8, vcc_lo, v5, v8
	v_add3_u32 v9, v9, v12, v11
	v_sub_nc_u32_e32 v11, v6, v9
	v_subrev_co_ci_u32_e64 v11, s0, s25, v11, vcc_lo
	v_add_co_u32 v12, s0, v4, 2
	v_add_co_ci_u32_e64 v13, s0, 0, v10, s0
	v_sub_co_u32 v14, s0, v8, s24
	v_sub_co_ci_u32_e32 v9, vcc_lo, v6, v9, vcc_lo
	v_subrev_co_ci_u32_e64 v11, s0, 0, v11, s0
	v_cmp_le_u32_e32 vcc_lo, s24, v14
	v_cmp_eq_u32_e64 s0, s25, v9
	v_cndmask_b32_e64 v14, 0, -1, vcc_lo
	v_cmp_le_u32_e32 vcc_lo, s25, v11
	v_cndmask_b32_e64 v15, 0, -1, vcc_lo
	v_cmp_le_u32_e32 vcc_lo, s24, v8
	;; [unrolled: 2-line block ×3, first 2 shown]
	v_cndmask_b32_e64 v16, 0, -1, vcc_lo
	v_cmp_eq_u32_e32 vcc_lo, s25, v11
	v_cndmask_b32_e64 v8, v16, v8, s0
	v_cndmask_b32_e32 v11, v15, v14, vcc_lo
	v_add_co_u32 v14, vcc_lo, v4, 1
	v_add_co_ci_u32_e32 v15, vcc_lo, 0, v10, vcc_lo
	v_cmp_ne_u32_e32 vcc_lo, 0, v11
	v_cndmask_b32_e32 v9, v15, v13, vcc_lo
	v_cndmask_b32_e32 v11, v14, v12, vcc_lo
	v_cmp_ne_u32_e32 vcc_lo, 0, v8
	v_cndmask_b32_e32 v69, v10, v9, vcc_lo
	v_cndmask_b32_e32 v68, v4, v11, vcc_lo
.LBB0_4:                                ;   in Loop: Header=BB0_2 Depth=1
	s_andn2_saveexec_b32 s0, s1
	s_cbranch_execz .LBB0_6
; %bb.5:                                ;   in Loop: Header=BB0_2 Depth=1
	v_cvt_f32_u32_e32 v4, s24
	s_sub_i32 s1, 0, s24
	v_mov_b32_e32 v69, v3
	v_rcp_iflag_f32_e32 v4, v4
	v_mul_f32_e32 v4, 0x4f7ffffe, v4
	v_cvt_u32_f32_e32 v4, v4
	v_mul_lo_u32 v8, s1, v4
	v_mul_hi_u32 v8, v4, v8
	v_add_nc_u32_e32 v4, v4, v8
	v_mul_hi_u32 v4, v5, v4
	v_mul_lo_u32 v8, v4, s24
	v_add_nc_u32_e32 v9, 1, v4
	v_sub_nc_u32_e32 v8, v5, v8
	v_subrev_nc_u32_e32 v10, s24, v8
	v_cmp_le_u32_e32 vcc_lo, s24, v8
	v_cndmask_b32_e32 v8, v8, v10, vcc_lo
	v_cndmask_b32_e32 v4, v4, v9, vcc_lo
	v_cmp_le_u32_e32 vcc_lo, s24, v8
	v_add_nc_u32_e32 v9, 1, v4
	v_cndmask_b32_e32 v68, v4, v9, vcc_lo
.LBB0_6:                                ;   in Loop: Header=BB0_2 Depth=1
	s_or_b32 exec_lo, exec_lo, s0
	v_mul_lo_u32 v4, v69, s24
	v_mul_lo_u32 v10, v68, s25
	s_load_dwordx2 s[0:1], s[6:7], 0x0
	v_mad_u64_u32 v[8:9], null, v68, s24, 0
	s_load_dwordx2 s[24:25], s[2:3], 0x0
	s_add_u32 s22, s22, 1
	s_addc_u32 s23, s23, 0
	s_add_u32 s2, s2, 8
	s_addc_u32 s3, s3, 0
	s_add_u32 s6, s6, 8
	v_add3_u32 v4, v9, v10, v4
	v_sub_co_u32 v5, vcc_lo, v5, v8
	s_addc_u32 s7, s7, 0
	s_add_u32 s20, s20, 8
	v_sub_co_ci_u32_e32 v4, vcc_lo, v6, v4, vcc_lo
	s_addc_u32 s21, s21, 0
	s_waitcnt lgkmcnt(0)
	v_mul_lo_u32 v6, s0, v4
	v_mul_lo_u32 v8, s1, v5
	v_mad_u64_u32 v[1:2], null, s0, v5, v[1:2]
	v_mul_lo_u32 v4, s24, v4
	v_mul_lo_u32 v9, s25, v5
	v_mad_u64_u32 v[64:65], null, s24, v5, v[64:65]
	v_cmp_ge_u64_e64 s0, s[22:23], s[14:15]
	v_add3_u32 v2, v8, v2, v6
	v_add3_u32 v65, v9, v65, v4
	s_and_b32 vcc_lo, exec_lo, s0
	s_cbranch_vccnz .LBB0_9
; %bb.7:                                ;   in Loop: Header=BB0_2 Depth=1
	v_mov_b32_e32 v5, v68
	v_mov_b32_e32 v6, v69
	s_branch .LBB0_2
.LBB0_8:
	v_mov_b32_e32 v65, v2
	v_mov_b32_e32 v69, v6
	;; [unrolled: 1-line block ×4, first 2 shown]
.LBB0_9:
	s_load_dwordx2 s[0:1], s[4:5], 0x28
	s_lshl_b64 s[4:5], s[14:15], 3
	v_and_b32_e32 v66, 15, v0
	s_add_u32 s2, s18, s4
	s_addc_u32 s3, s19, s5
	s_waitcnt lgkmcnt(0)
	v_cmp_gt_u64_e32 vcc_lo, s[0:1], v[68:69]
	v_cmp_le_u64_e64 s0, s[0:1], v[68:69]
	s_and_saveexec_b32 s1, s0
	s_xor_b32 s0, exec_lo, s1
; %bb.10:
	v_and_b32_e32 v66, 15, v0
                                        ; implicit-def: $vgpr1_vgpr2
; %bb.11:
	s_or_saveexec_b32 s1, s0
	s_load_dwordx2 s[2:3], s[2:3], 0x0
	v_mul_u32_u24_e32 v0, 0xd1, v7
	v_lshlrev_b32_e32 v54, 4, v0
	s_xor_b32 exec_lo, exec_lo, s1
	s_cbranch_execz .LBB0_15
; %bb.12:
	s_add_u32 s4, s16, s4
	s_addc_u32 s5, s17, s5
	v_lshlrev_b64 v[1:2], 4, v[1:2]
	s_load_dwordx2 s[4:5], s[4:5], 0x0
	v_lshlrev_b32_e32 v59, 4, v66
	v_or_b32_e32 v7, 0xa00, v59
	v_or_b32_e32 v8, 0xb00, v59
	s_waitcnt lgkmcnt(0)
	v_mul_lo_u32 v5, s5, v68
	v_mul_lo_u32 v6, s4, v69
	v_mad_u64_u32 v[3:4], null, s4, v68, 0
	s_mov_b32 s4, exec_lo
	v_add3_u32 v4, v4, v6, v5
	v_or_b32_e32 v5, 0x800, v59
	v_or_b32_e32 v6, 0x900, v59
	v_lshlrev_b64 v[3:4], 4, v[3:4]
	v_add_co_u32 v3, s0, s8, v3
	v_add_co_ci_u32_e64 v4, s0, s9, v4, s0
	v_add_co_u32 v1, s0, v3, v1
	v_add_co_ci_u32_e64 v2, s0, v4, v2, s0
	v_or_b32_e32 v3, 0xc00, v59
	v_add_co_u32 v32, s0, v1, v59
	v_add_co_ci_u32_e64 v33, s0, 0, v2, s0
	v_add_co_u32 v36, s0, v1, v5
	v_add_co_ci_u32_e64 v37, s0, 0, v2, s0
	v_add_co_u32 v40, s0, v1, v6
	v_add_co_ci_u32_e64 v41, s0, 0, v2, s0
	v_add_co_u32 v44, s0, v1, v7
	v_add_co_ci_u32_e64 v45, s0, 0, v2, s0
	v_add_co_u32 v48, s0, v1, v8
	v_add_co_ci_u32_e64 v49, s0, 0, v2, s0
	v_add_co_u32 v52, s0, v1, v3
	v_add_co_ci_u32_e64 v53, s0, 0, v2, s0
	s_clause 0xc
	global_load_dwordx4 v[4:7], v[32:33], off
	global_load_dwordx4 v[8:11], v[32:33], off offset:256
	global_load_dwordx4 v[12:15], v[32:33], off offset:512
	;; [unrolled: 1-line block ×7, first 2 shown]
	global_load_dwordx4 v[36:39], v[36:37], off
	global_load_dwordx4 v[40:43], v[40:41], off
	global_load_dwordx4 v[44:47], v[44:45], off
	global_load_dwordx4 v[48:51], v[48:49], off
	global_load_dwordx4 v[55:58], v[52:53], off
	v_add3_u32 v3, 0, v54, v59
	s_waitcnt vmcnt(12)
	ds_write_b128 v3, v[4:7]
	s_waitcnt vmcnt(11)
	ds_write_b128 v3, v[8:11] offset:256
	s_waitcnt vmcnt(10)
	ds_write_b128 v3, v[12:15] offset:512
	s_waitcnt vmcnt(9)
	ds_write_b128 v3, v[16:19] offset:768
	s_waitcnt vmcnt(8)
	ds_write_b128 v3, v[20:23] offset:1024
	s_waitcnt vmcnt(7)
	ds_write_b128 v3, v[24:27] offset:1280
	s_waitcnt vmcnt(6)
	ds_write_b128 v3, v[28:31] offset:1536
	s_waitcnt vmcnt(5)
	ds_write_b128 v3, v[32:35] offset:1792
	s_waitcnt vmcnt(4)
	ds_write_b128 v3, v[36:39] offset:2048
	s_waitcnt vmcnt(3)
	ds_write_b128 v3, v[40:43] offset:2304
	s_waitcnt vmcnt(2)
	ds_write_b128 v3, v[44:47] offset:2560
	s_waitcnt vmcnt(1)
	ds_write_b128 v3, v[48:51] offset:2816
	s_waitcnt vmcnt(0)
	ds_write_b128 v3, v[55:58] offset:3072
	v_cmpx_eq_u32_e32 15, v66
	s_cbranch_execz .LBB0_14
; %bb.13:
	v_add_co_u32 v1, s0, 0x800, v1
	v_add_co_ci_u32_e64 v2, s0, 0, v2, s0
	v_mov_b32_e32 v66, 15
	global_load_dwordx4 v[4:7], v[1:2], off offset:1280
	s_waitcnt vmcnt(0)
	ds_write_b128 v3, v[4:7] offset:3088
.LBB0_14:
	s_or_b32 exec_lo, exec_lo, s4
.LBB0_15:
	s_or_b32 exec_lo, exec_lo, s1
	v_lshl_add_u32 v70, v0, 4, 0
	v_lshlrev_b32_e32 v10, 4, v66
	s_waitcnt lgkmcnt(0)
	s_barrier
	buffer_gl0_inv
	s_add_u32 s1, s12, 0xc30
	v_add_nc_u32_e32 v71, v70, v10
	v_sub_nc_u32_e32 v11, v70, v10
	s_addc_u32 s4, s13, 0
	s_mov_b32 s5, exec_lo
	ds_read_b64 v[6:7], v71
	ds_read_b64 v[8:9], v11 offset:3328
                                        ; implicit-def: $vgpr4_vgpr5
	s_waitcnt lgkmcnt(0)
	v_add_f64 v[0:1], v[6:7], v[8:9]
	v_add_f64 v[2:3], v[6:7], -v[8:9]
	v_cmpx_ne_u32_e32 0, v66
	s_xor_b32 s5, exec_lo, s5
	s_cbranch_execz .LBB0_17
; %bb.16:
	v_mov_b32_e32 v67, 0
	v_add_f64 v[14:15], v[6:7], v[8:9]
	v_add_f64 v[16:17], v[6:7], -v[8:9]
	v_lshlrev_b64 v[0:1], 4, v[66:67]
	v_add_co_u32 v0, s0, s1, v0
	v_add_co_ci_u32_e64 v1, s0, s4, v1, s0
	global_load_dwordx4 v[2:5], v[0:1], off
	ds_read_b64 v[0:1], v11 offset:3336
	ds_read_b64 v[12:13], v71 offset:8
	s_waitcnt lgkmcnt(0)
	v_add_f64 v[6:7], v[0:1], v[12:13]
	v_add_f64 v[0:1], v[12:13], -v[0:1]
	s_waitcnt vmcnt(0)
	v_fma_f64 v[8:9], v[16:17], v[4:5], v[14:15]
	v_fma_f64 v[12:13], -v[16:17], v[4:5], v[14:15]
	v_fma_f64 v[14:15], v[6:7], v[4:5], -v[0:1]
	v_fma_f64 v[4:5], v[6:7], v[4:5], v[0:1]
	v_fma_f64 v[0:1], -v[6:7], v[2:3], v[8:9]
	v_fma_f64 v[6:7], v[6:7], v[2:3], v[12:13]
	v_fma_f64 v[8:9], v[16:17], v[2:3], v[14:15]
	;; [unrolled: 1-line block ×3, first 2 shown]
	v_mov_b32_e32 v4, v66
	v_mov_b32_e32 v5, v67
	ds_write_b128 v11, v[6:9] offset:3328
.LBB0_17:
	s_andn2_saveexec_b32 s0, s5
	s_cbranch_execz .LBB0_19
; %bb.18:
	ds_read_b128 v[4:7], v70 offset:1664
	s_waitcnt lgkmcnt(0)
	v_add_f64 v[12:13], v[4:5], v[4:5]
	v_mul_f64 v[14:15], v[6:7], -2.0
	v_mov_b32_e32 v4, 0
	v_mov_b32_e32 v5, 0
	ds_write_b128 v70, v[12:15] offset:1664
.LBB0_19:
	s_or_b32 exec_lo, exec_lo, s0
	v_lshlrev_b64 v[4:5], 4, v[4:5]
	v_add_co_u32 v4, s0, s1, v4
	v_add_co_ci_u32_e64 v5, s0, s4, v5, s0
	s_mov_b32 s1, exec_lo
	s_clause 0x2
	global_load_dwordx4 v[6:9], v[4:5], off offset:256
	global_load_dwordx4 v[12:15], v[4:5], off offset:512
	;; [unrolled: 1-line block ×3, first 2 shown]
	ds_write_b128 v71, v[0:3]
	ds_read_b128 v[0:3], v71 offset:256
	ds_read_b128 v[20:23], v11 offset:3072
	global_load_dwordx4 v[24:27], v[4:5], off offset:1024
	s_waitcnt lgkmcnt(0)
	v_add_f64 v[28:29], v[0:1], v[20:21]
	v_add_f64 v[30:31], v[22:23], v[2:3]
	v_add_f64 v[32:33], v[0:1], -v[20:21]
	v_add_f64 v[0:1], v[2:3], -v[22:23]
	s_waitcnt vmcnt(3)
	v_fma_f64 v[2:3], v[32:33], v[8:9], v[28:29]
	v_fma_f64 v[20:21], v[30:31], v[8:9], v[0:1]
	v_fma_f64 v[22:23], -v[32:33], v[8:9], v[28:29]
	v_fma_f64 v[8:9], v[30:31], v[8:9], -v[0:1]
	v_fma_f64 v[0:1], -v[30:31], v[6:7], v[2:3]
	v_fma_f64 v[2:3], v[32:33], v[6:7], v[20:21]
	v_fma_f64 v[20:21], v[30:31], v[6:7], v[22:23]
	;; [unrolled: 1-line block ×3, first 2 shown]
	ds_write_b128 v71, v[0:3] offset:256
	ds_write_b128 v11, v[20:23] offset:3072
	ds_read_b128 v[0:3], v71 offset:512
	ds_read_b128 v[6:9], v11 offset:2816
	global_load_dwordx4 v[20:23], v[4:5], off offset:1280
	s_waitcnt lgkmcnt(0)
	v_add_f64 v[28:29], v[0:1], v[6:7]
	v_add_f64 v[30:31], v[8:9], v[2:3]
	v_add_f64 v[32:33], v[0:1], -v[6:7]
	v_add_f64 v[0:1], v[2:3], -v[8:9]
	s_waitcnt vmcnt(3)
	v_fma_f64 v[2:3], v[32:33], v[14:15], v[28:29]
	v_fma_f64 v[6:7], v[30:31], v[14:15], v[0:1]
	v_fma_f64 v[8:9], -v[32:33], v[14:15], v[28:29]
	v_fma_f64 v[14:15], v[30:31], v[14:15], -v[0:1]
	v_fma_f64 v[0:1], -v[30:31], v[12:13], v[2:3]
	v_fma_f64 v[2:3], v[32:33], v[12:13], v[6:7]
	v_fma_f64 v[6:7], v[30:31], v[12:13], v[8:9]
	v_fma_f64 v[8:9], v[32:33], v[12:13], v[14:15]
	ds_write_b128 v71, v[0:3] offset:512
	ds_write_b128 v11, v[6:9] offset:2816
	ds_read_b128 v[0:3], v71 offset:768
	ds_read_b128 v[6:9], v11 offset:2560
	s_waitcnt lgkmcnt(0)
	v_add_f64 v[12:13], v[0:1], v[6:7]
	v_add_f64 v[14:15], v[8:9], v[2:3]
	v_add_f64 v[28:29], v[0:1], -v[6:7]
	v_add_f64 v[0:1], v[2:3], -v[8:9]
	s_waitcnt vmcnt(2)
	v_fma_f64 v[2:3], v[28:29], v[18:19], v[12:13]
	v_fma_f64 v[6:7], v[14:15], v[18:19], v[0:1]
	v_fma_f64 v[8:9], -v[28:29], v[18:19], v[12:13]
	v_fma_f64 v[12:13], v[14:15], v[18:19], -v[0:1]
	v_fma_f64 v[0:1], -v[14:15], v[16:17], v[2:3]
	v_fma_f64 v[2:3], v[28:29], v[16:17], v[6:7]
	v_fma_f64 v[6:7], v[14:15], v[16:17], v[8:9]
	v_fma_f64 v[8:9], v[28:29], v[16:17], v[12:13]
	ds_write_b128 v71, v[0:3] offset:768
	ds_write_b128 v11, v[6:9] offset:2560
	ds_read_b128 v[0:3], v71 offset:1024
	ds_read_b128 v[6:9], v11 offset:2304
	;; [unrolled: 18-line block ×3, first 2 shown]
	s_waitcnt lgkmcnt(0)
	v_add_f64 v[12:13], v[0:1], v[6:7]
	v_add_f64 v[14:15], v[8:9], v[2:3]
	v_add_f64 v[16:17], v[0:1], -v[6:7]
	v_add_f64 v[0:1], v[2:3], -v[8:9]
	s_waitcnt vmcnt(0)
	v_fma_f64 v[2:3], v[16:17], v[22:23], v[12:13]
	v_fma_f64 v[6:7], v[14:15], v[22:23], v[0:1]
	v_fma_f64 v[8:9], -v[16:17], v[22:23], v[12:13]
	v_fma_f64 v[12:13], v[14:15], v[22:23], -v[0:1]
	v_fma_f64 v[0:1], -v[14:15], v[20:21], v[2:3]
	v_fma_f64 v[2:3], v[16:17], v[20:21], v[6:7]
	v_fma_f64 v[6:7], v[14:15], v[20:21], v[8:9]
	;; [unrolled: 1-line block ×3, first 2 shown]
	v_or_b32_e32 v12, 0x60, v66
	ds_write_b128 v71, v[0:3] offset:1280
	ds_write_b128 v11, v[6:9] offset:2048
	v_cmpx_gt_u32_e32 0x68, v12
	s_cbranch_execz .LBB0_21
; %bb.20:
	global_load_dwordx4 v[0:3], v[4:5], off offset:1536
	ds_read_b128 v[4:7], v71 offset:1536
	ds_read_b128 v[12:15], v11 offset:1792
	s_waitcnt lgkmcnt(0)
	v_add_f64 v[8:9], v[4:5], v[12:13]
	v_add_f64 v[16:17], v[14:15], v[6:7]
	v_add_f64 v[12:13], v[4:5], -v[12:13]
	v_add_f64 v[4:5], v[6:7], -v[14:15]
	s_waitcnt vmcnt(0)
	v_fma_f64 v[6:7], v[12:13], v[2:3], v[8:9]
	v_fma_f64 v[14:15], v[16:17], v[2:3], v[4:5]
	v_fma_f64 v[8:9], -v[12:13], v[2:3], v[8:9]
	v_fma_f64 v[18:19], v[16:17], v[2:3], -v[4:5]
	v_fma_f64 v[2:3], -v[16:17], v[0:1], v[6:7]
	v_fma_f64 v[4:5], v[12:13], v[0:1], v[14:15]
	v_fma_f64 v[6:7], v[16:17], v[0:1], v[8:9]
	;; [unrolled: 1-line block ×3, first 2 shown]
	ds_write_b128 v71, v[2:5] offset:1536
	ds_write_b128 v11, v[6:9] offset:1792
.LBB0_21:
	s_or_b32 exec_lo, exec_lo, s1
	v_add3_u32 v67, 0, v10, v54
	s_waitcnt lgkmcnt(0)
	s_barrier
	buffer_gl0_inv
	s_barrier
	buffer_gl0_inv
	ds_read_b128 v[4:7], v71
	ds_read_b128 v[16:19], v67 offset:256
	ds_read_b128 v[20:23], v67 offset:512
	;; [unrolled: 1-line block ×3, first 2 shown]
	s_mov_b32 s5, 0xbfddbe06
	s_mov_b32 s4, 0x4267c47c
	;; [unrolled: 1-line block ×18, first 2 shown]
	s_waitcnt lgkmcnt(2)
	v_add_f64 v[0:1], v[4:5], v[16:17]
	v_add_f64 v[2:3], v[6:7], v[18:19]
	s_mov_b32 s28, 0x4bc48dbf
	s_mov_b32 s22, 0xd0032e0c
	;; [unrolled: 1-line block ×10, first 2 shown]
	s_waitcnt lgkmcnt(1)
	v_add_f64 v[0:1], v[0:1], v[20:21]
	v_add_f64 v[2:3], v[2:3], v[22:23]
	s_waitcnt lgkmcnt(0)
	v_add_f64 v[24:25], v[0:1], v[12:13]
	v_add_f64 v[26:27], v[2:3], v[14:15]
	ds_read_b128 v[0:3], v67 offset:1024
	ds_read_b128 v[8:11], v67 offset:1280
	s_waitcnt lgkmcnt(1)
	v_add_f64 v[28:29], v[24:25], v[0:1]
	v_add_f64 v[30:31], v[26:27], v[2:3]
	ds_read_b128 v[24:27], v67 offset:3072
	ds_read_b128 v[48:51], v67 offset:1536
	;; [unrolled: 1-line block ×7, first 2 shown]
	s_waitcnt lgkmcnt(0)
	s_barrier
	buffer_gl0_inv
	v_add_f64 v[52:53], v[18:19], -v[26:27]
	v_add_f64 v[28:29], v[28:29], v[8:9]
	v_add_f64 v[30:31], v[30:31], v[10:11]
	v_add_f64 v[76:77], v[16:17], -v[24:25]
	v_add_f64 v[34:35], v[22:23], -v[57:58]
	;; [unrolled: 1-line block ×3, first 2 shown]
	v_add_f64 v[78:79], v[16:17], v[24:25]
	v_add_f64 v[82:83], v[18:19], v[26:27]
	;; [unrolled: 1-line block ×4, first 2 shown]
	v_add_f64 v[20:21], v[0:1], -v[38:39]
	v_add_f64 v[22:23], v[2:3], -v[40:41]
	v_mul_f64 v[80:81], v[52:53], s[4:5]
	v_add_f64 v[28:29], v[28:29], v[48:49]
	v_add_f64 v[30:31], v[30:31], v[50:51]
	v_mul_f64 v[84:85], v[76:77], s[4:5]
	v_mul_f64 v[86:87], v[34:35], s[6:7]
	;; [unrolled: 1-line block ×11, first 2 shown]
	s_mov_b32 s5, 0x3fddbe06
	v_fma_f64 v[88:89], v[78:79], s[0:1], -v[80:81]
	v_add_f64 v[36:37], v[28:29], v[59:60]
	v_add_f64 v[42:43], v[30:31], v[61:62]
	v_add_f64 v[30:31], v[14:15], -v[74:75]
	v_add_f64 v[28:29], v[12:13], -v[72:73]
	v_fma_f64 v[92:93], v[82:83], s[0:1], v[84:85]
	v_fma_f64 v[100:101], v[18:19], s[14:15], -v[86:87]
	v_fma_f64 v[102:103], v[16:17], s[14:15], v[90:91]
	v_fma_f64 v[84:85], v[82:83], s[0:1], -v[84:85]
	;; [unrolled: 2-line block ×3, first 2 shown]
	v_fma_f64 v[146:147], v[18:19], s[16:17], -v[126:127]
	v_add_f64 v[88:89], v[4:5], v[88:89]
	v_add_f64 v[94:95], v[36:37], v[44:45]
	;; [unrolled: 1-line block ×5, first 2 shown]
	v_mul_f64 v[96:97], v[30:31], s[26:27]
	v_mul_f64 v[98:99], v[28:29], s[26:27]
	v_add_f64 v[92:93], v[6:7], v[92:93]
	v_add_f64 v[14:15], v[8:9], v[44:45]
	v_add_f64 v[8:9], v[8:9], -v[44:45]
	v_add_f64 v[44:45], v[50:51], v[61:62]
	v_add_f64 v[50:51], v[50:51], -v[61:62]
	v_mul_f64 v[61:62], v[52:53], s[26:27]
	v_mul_f64 v[124:125], v[30:31], s[28:29]
	;; [unrolled: 1-line block ×3, first 2 shown]
	v_add_f64 v[84:85], v[6:7], v[84:85]
	v_add_f64 v[110:111], v[6:7], v[110:111]
	;; [unrolled: 1-line block ×7, first 2 shown]
	v_add_f64 v[10:11], v[10:11], -v[46:47]
	v_fma_f64 v[0:1], v[36:37], s[8:9], -v[96:97]
	v_add_f64 v[2:3], v[100:101], v[88:89]
	v_fma_f64 v[88:89], v[12:13], s[8:9], v[98:99]
	v_add_f64 v[92:93], v[102:103], v[92:93]
	v_add_f64 v[46:47], v[48:49], v[59:60]
	v_add_f64 v[48:49], v[48:49], -v[59:60]
	v_mul_f64 v[118:119], v[8:9], s[24:25]
	v_mul_f64 v[59:60], v[52:53], s[6:7]
	;; [unrolled: 1-line block ×5, first 2 shown]
	v_fma_f64 v[96:97], v[36:37], s[8:9], v[96:97]
	v_fma_f64 v[98:99], v[12:13], s[8:9], -v[98:99]
	v_add_f64 v[72:73], v[94:95], v[72:73]
	v_add_f64 v[74:75], v[104:105], v[74:75]
	v_fma_f64 v[120:121], v[42:43], s[20:21], -v[106:107]
	v_mul_f64 v[94:95], v[52:53], s[28:29]
	v_mul_f64 v[104:105], v[76:77], s[6:7]
	;; [unrolled: 1-line block ×4, first 2 shown]
	v_add_f64 v[0:1], v[0:1], v[2:3]
	v_fma_f64 v[2:3], v[40:41], s[20:21], v[108:109]
	v_add_f64 v[88:89], v[88:89], v[92:93]
	v_mul_f64 v[92:93], v[34:35], s[18:19]
	v_mul_f64 v[52:53], v[48:49], s[28:29]
	v_fma_f64 v[140:141], v[38:39], s[22:23], v[118:119]
	v_fma_f64 v[106:107], v[42:43], s[20:21], v[106:107]
	v_fma_f64 v[134:135], v[78:79], s[20:21], -v[100:101]
	v_fma_f64 v[100:101], v[78:79], s[20:21], v[100:101]
	v_fma_f64 v[136:137], v[78:79], s[22:23], -v[102:103]
	;; [unrolled: 2-line block ×3, first 2 shown]
	v_fma_f64 v[118:119], v[38:39], s[22:23], -v[118:119]
	s_mov_b32 s29, 0x3fcea1e5
	v_add_f64 v[55:56], v[72:73], v[55:56]
	v_add_f64 v[57:58], v[74:75], v[57:58]
	v_fma_f64 v[72:73], v[78:79], s[0:1], v[80:81]
	v_fma_f64 v[74:75], v[78:79], s[14:15], -v[59:60]
	v_fma_f64 v[59:60], v[78:79], s[14:15], v[59:60]
	v_fma_f64 v[138:139], v[14:15], s[22:23], -v[116:117]
	v_fma_f64 v[80:81], v[78:79], s[8:9], -v[61:62]
	v_add_f64 v[120:121], v[120:121], v[0:1]
	v_fma_f64 v[61:62], v[78:79], s[8:9], v[61:62]
	v_add_f64 v[88:89], v[2:3], v[88:89]
	v_fma_f64 v[142:143], v[78:79], s[16:17], -v[94:95]
	v_fma_f64 v[78:79], v[78:79], s[16:17], v[94:95]
	v_fma_f64 v[94:95], v[82:83], s[14:15], v[104:105]
	v_fma_f64 v[104:105], v[82:83], s[14:15], -v[104:105]
	v_add_f64 v[134:135], v[4:5], v[134:135]
	v_add_f64 v[100:101], v[4:5], v[100:101]
	;; [unrolled: 1-line block ×4, first 2 shown]
	v_fma_f64 v[116:117], v[14:15], s[22:23], v[116:117]
	v_add_f64 v[0:1], v[55:56], v[24:25]
	v_add_f64 v[2:3], v[57:58], v[26:27]
	v_fma_f64 v[24:25], v[82:83], s[20:21], v[112:113]
	v_fma_f64 v[26:27], v[82:83], s[20:21], -v[112:113]
	v_fma_f64 v[55:56], v[82:83], s[22:23], v[114:115]
	v_fma_f64 v[57:58], v[82:83], s[22:23], -v[114:115]
	;; [unrolled: 2-line block ×3, first 2 shown]
	v_fma_f64 v[82:83], v[18:19], s[14:15], v[86:87]
	v_add_f64 v[114:115], v[138:139], v[120:121]
	v_fma_f64 v[120:121], v[46:47], s[16:17], -v[132:133]
	v_add_f64 v[88:89], v[140:141], v[88:89]
	v_fma_f64 v[138:139], v[44:45], s[16:17], v[52:53]
	v_add_f64 v[72:73], v[4:5], v[72:73]
	v_fma_f64 v[86:87], v[16:17], s[14:15], -v[90:91]
	v_fma_f64 v[90:91], v[18:19], s[20:21], -v[92:93]
	v_add_f64 v[74:75], v[4:5], v[74:75]
	v_add_f64 v[94:95], v[6:7], v[94:95]
	;; [unrolled: 1-line block ×15, first 2 shown]
	v_fma_f64 v[144:145], v[16:17], s[20:21], v[122:123]
	v_add_f64 v[4:5], v[120:121], v[114:115]
	v_mul_f64 v[114:115], v[30:31], s[30:31]
	v_add_f64 v[6:7], v[138:139], v[88:89]
	v_fma_f64 v[88:89], v[16:17], s[16:17], v[128:129]
	v_fma_f64 v[120:121], v[18:19], s[16:17], v[126:127]
	v_fma_f64 v[126:127], v[16:17], s[16:17], -v[128:129]
	v_add_f64 v[72:73], v[82:83], v[72:73]
	v_mul_f64 v[82:83], v[28:29], s[30:31]
	v_add_f64 v[84:85], v[86:87], v[84:85]
	v_mul_f64 v[86:87], v[22:23], s[34:35]
	;; [unrolled: 2-line block ×3, first 2 shown]
	v_mul_f64 v[128:129], v[22:23], s[4:5]
	v_add_f64 v[80:81], v[146:147], v[80:81]
	v_fma_f64 v[138:139], v[36:37], s[16:17], -v[124:125]
	s_mov_b32 s31, 0x3fefc445
	s_mov_b32 s30, s26
	v_fma_f64 v[52:53], v[44:45], s[16:17], -v[52:53]
	v_add_f64 v[94:95], v[144:145], v[94:95]
	v_add_f64 v[88:89], v[88:89], v[140:141]
	v_fma_f64 v[140:141], v[12:13], s[16:17], v[130:131]
	v_add_f64 v[61:62], v[120:121], v[61:62]
	v_fma_f64 v[120:121], v[36:37], s[20:21], -v[114:115]
	v_add_f64 v[110:111], v[126:127], v[110:111]
	v_fma_f64 v[126:127], v[12:13], s[20:21], v[82:83]
	v_fma_f64 v[114:115], v[36:37], s[20:21], v[114:115]
	v_add_f64 v[72:73], v[96:97], v[72:73]
	v_mul_f64 v[96:97], v[20:21], s[4:5]
	v_fma_f64 v[82:83], v[12:13], s[20:21], -v[82:83]
	v_add_f64 v[84:85], v[98:99], v[84:85]
	v_mul_f64 v[98:99], v[10:11], s[30:31]
	v_add_f64 v[74:75], v[138:139], v[74:75]
	v_mul_f64 v[138:139], v[8:9], s[30:31]
	v_add_f64 v[94:95], v[140:141], v[94:95]
	v_fma_f64 v[140:141], v[42:43], s[22:23], -v[86:87]
	v_add_f64 v[80:81], v[120:121], v[80:81]
	v_fma_f64 v[120:121], v[40:41], s[22:23], v[90:91]
	v_add_f64 v[88:89], v[126:127], v[88:89]
	v_fma_f64 v[126:127], v[42:43], s[0:1], -v[128:129]
	v_add_f64 v[61:62], v[114:115], v[61:62]
	v_fma_f64 v[114:115], v[40:41], s[0:1], v[96:97]
	v_add_f64 v[82:83], v[82:83], v[110:111]
	v_mul_f64 v[110:111], v[10:11], s[6:7]
	v_add_f64 v[72:73], v[106:107], v[72:73]
	v_mul_f64 v[106:107], v[8:9], s[6:7]
	;; [unrolled: 2-line block ×3, first 2 shown]
	v_fma_f64 v[128:129], v[42:43], s[0:1], v[128:129]
	v_fma_f64 v[96:97], v[40:41], s[0:1], -v[96:97]
	v_add_f64 v[74:75], v[140:141], v[74:75]
	v_mul_f64 v[140:141], v[32:33], s[34:35]
	v_add_f64 v[94:95], v[120:121], v[94:95]
	v_fma_f64 v[120:121], v[14:15], s[8:9], -v[98:99]
	v_add_f64 v[80:81], v[126:127], v[80:81]
	v_fma_f64 v[126:127], v[38:39], s[8:9], v[138:139]
	v_add_f64 v[88:89], v[114:115], v[88:89]
	v_fma_f64 v[114:115], v[14:15], s[14:15], -v[110:111]
	v_add_f64 v[72:73], v[116:117], v[72:73]
	v_mul_f64 v[116:117], v[30:31], s[4:5]
	v_add_f64 v[84:85], v[118:119], v[84:85]
	v_fma_f64 v[118:119], v[38:39], s[14:15], v[106:107]
	v_add_f64 v[61:62], v[128:129], v[61:62]
	v_mul_f64 v[128:129], v[20:21], s[26:27]
	v_fma_f64 v[110:111], v[14:15], s[14:15], v[110:111]
	v_add_f64 v[82:83], v[96:97], v[82:83]
	v_fma_f64 v[106:107], v[38:39], s[14:15], -v[106:107]
	v_add_f64 v[74:75], v[120:121], v[74:75]
	v_fma_f64 v[120:121], v[18:19], s[22:23], -v[108:109]
	v_add_f64 v[94:95], v[126:127], v[94:95]
	v_fma_f64 v[126:127], v[16:17], s[22:23], v[140:141]
	v_fma_f64 v[108:109], v[18:19], s[22:23], v[108:109]
	v_add_f64 v[80:81], v[114:115], v[80:81]
	v_mul_f64 v[114:115], v[28:29], s[4:5]
	v_add_f64 v[88:89], v[118:119], v[88:89]
	v_add_f64 v[61:62], v[110:111], v[61:62]
	v_mul_f64 v[110:111], v[10:11], s[28:29]
	v_add_f64 v[82:83], v[106:107], v[82:83]
	v_add_f64 v[118:119], v[120:121], v[134:135]
	v_fma_f64 v[120:121], v[36:37], s[0:1], -v[116:117]
	v_add_f64 v[24:25], v[126:127], v[24:25]
	v_mul_f64 v[134:135], v[22:23], s[26:27]
	v_add_f64 v[100:101], v[108:109], v[100:101]
	v_fma_f64 v[126:127], v[12:13], s[0:1], v[114:115]
	v_fma_f64 v[108:109], v[36:37], s[0:1], v[116:117]
	v_mul_f64 v[116:117], v[34:35], s[30:31]
	v_fma_f64 v[114:115], v[12:13], s[0:1], -v[114:115]
	v_mul_f64 v[34:35], v[34:35], s[4:5]
	v_add_f64 v[96:97], v[120:121], v[118:119]
	v_fma_f64 v[120:121], v[16:17], s[22:23], -v[140:141]
	v_fma_f64 v[118:119], v[42:43], s[8:9], -v[134:135]
	v_mul_f64 v[140:141], v[8:9], s[28:29]
	v_add_f64 v[24:25], v[126:127], v[24:25]
	v_fma_f64 v[126:127], v[40:41], s[8:9], v[128:129]
	v_add_f64 v[100:101], v[108:109], v[100:101]
	v_fma_f64 v[134:135], v[42:43], s[8:9], v[134:135]
	v_fma_f64 v[108:109], v[18:19], s[8:9], -v[116:117]
	v_fma_f64 v[116:117], v[18:19], s[8:9], v[116:117]
	v_add_f64 v[26:27], v[120:121], v[26:27]
	v_add_f64 v[96:97], v[118:119], v[96:97]
	v_mul_f64 v[118:119], v[32:33], s[30:31]
	v_fma_f64 v[106:107], v[38:39], s[16:17], v[140:141]
	v_add_f64 v[24:25], v[126:127], v[24:25]
	v_fma_f64 v[126:127], v[14:15], s[16:17], -v[110:111]
	v_mul_f64 v[32:33], v[32:33], s[4:5]
	v_mul_f64 v[120:121], v[30:31], s[6:7]
	v_add_f64 v[100:101], v[134:135], v[100:101]
	v_mul_f64 v[30:31], v[30:31], s[24:25]
	v_add_f64 v[108:109], v[108:109], v[136:137]
	v_add_f64 v[102:103], v[116:117], v[102:103]
	v_mul_f64 v[116:117], v[50:51], s[24:25]
	v_fma_f64 v[110:111], v[14:15], s[16:17], v[110:111]
	v_add_f64 v[26:27], v[114:115], v[26:27]
	v_fma_f64 v[114:115], v[40:41], s[8:9], -v[128:129]
	v_fma_f64 v[128:129], v[16:17], s[8:9], v[118:119]
	v_add_f64 v[24:25], v[106:107], v[24:25]
	v_add_f64 v[96:97], v[126:127], v[96:97]
	v_fma_f64 v[106:107], v[16:17], s[8:9], -v[118:119]
	v_fma_f64 v[118:119], v[18:19], s[0:1], -v[34:35]
	v_mul_f64 v[126:127], v[28:29], s[6:7]
	v_fma_f64 v[134:135], v[16:17], s[0:1], v[32:33]
	v_fma_f64 v[34:35], v[18:19], s[0:1], v[34:35]
	v_fma_f64 v[32:33], v[16:17], s[0:1], -v[32:33]
	v_mul_f64 v[28:29], v[28:29], s[24:25]
	v_fma_f64 v[18:19], v[18:19], s[20:21], v[92:93]
	v_fma_f64 v[16:17], v[16:17], s[20:21], -v[122:123]
	s_mov_b32 s7, 0x3fea55e2
	v_fma_f64 v[136:137], v[36:37], s[14:15], -v[120:121]
	v_fma_f64 v[92:93], v[46:47], s[16:17], v[132:133]
	v_mul_f64 v[132:133], v[22:23], s[28:29]
	v_fma_f64 v[120:121], v[36:37], s[14:15], v[120:121]
	v_mul_f64 v[22:23], v[22:23], s[6:7]
	v_mul_f64 v[122:123], v[48:49], s[4:5]
	v_add_f64 v[26:27], v[114:115], v[26:27]
	v_add_f64 v[55:56], v[128:129], v[55:56]
	v_mul_f64 v[114:115], v[50:51], s[4:5]
	v_add_f64 v[57:58], v[106:107], v[57:58]
	v_add_f64 v[118:119], v[118:119], v[142:143]
	v_fma_f64 v[128:129], v[12:13], s[14:15], v[126:127]
	v_add_f64 v[112:113], v[134:135], v[112:113]
	v_fma_f64 v[126:127], v[12:13], s[14:15], -v[126:127]
	v_add_f64 v[34:35], v[34:35], v[78:79]
	v_fma_f64 v[78:79], v[36:37], s[22:23], -v[30:31]
	v_add_f64 v[32:33], v[32:33], v[76:77]
	v_fma_f64 v[76:77], v[12:13], s[22:23], v[28:29]
	v_add_f64 v[18:19], v[18:19], v[59:60]
	v_mul_f64 v[59:60], v[20:21], s[28:29]
	v_fma_f64 v[30:31], v[36:37], s[22:23], v[30:31]
	v_fma_f64 v[28:29], v[12:13], s[22:23], -v[28:29]
	v_add_f64 v[16:17], v[16:17], v[104:105]
	v_fma_f64 v[36:37], v[36:37], s[16:17], v[124:125]
	v_fma_f64 v[12:13], v[12:13], s[16:17], -v[130:131]
	v_mul_f64 v[20:21], v[20:21], s[6:7]
	v_add_f64 v[108:109], v[136:137], v[108:109]
	v_add_f64 v[102:103], v[120:121], v[102:103]
	v_mul_f64 v[106:107], v[48:49], s[24:25]
	v_mul_f64 v[120:121], v[50:51], s[6:7]
	v_fma_f64 v[134:135], v[38:39], s[16:17], -v[140:141]
	v_fma_f64 v[104:105], v[46:47], s[0:1], -v[114:115]
	v_fma_f64 v[124:125], v[44:45], s[0:1], v[122:123]
	v_add_f64 v[55:56], v[128:129], v[55:56]
	v_fma_f64 v[130:131], v[46:47], s[22:23], -v[116:117]
	v_add_f64 v[57:58], v[126:127], v[57:58]
	v_mul_f64 v[126:127], v[48:49], s[6:7]
	v_add_f64 v[78:79], v[78:79], v[118:119]
	v_fma_f64 v[118:119], v[42:43], s[16:17], -v[132:133]
	v_add_f64 v[76:77], v[76:77], v[112:113]
	v_fma_f64 v[132:133], v[42:43], s[16:17], v[132:133]
	v_fma_f64 v[112:113], v[40:41], s[16:17], v[59:60]
	v_add_f64 v[30:31], v[30:31], v[34:35]
	v_mul_f64 v[34:35], v[10:11], s[4:5]
	v_add_f64 v[28:29], v[28:29], v[32:33]
	v_mul_f64 v[32:33], v[8:9], s[4:5]
	v_fma_f64 v[59:60], v[40:41], s[16:17], -v[59:60]
	v_add_f64 v[18:19], v[36:37], v[18:19]
	v_fma_f64 v[36:37], v[42:43], s[14:15], -v[22:23]
	v_add_f64 v[12:13], v[12:13], v[16:17]
	v_fma_f64 v[16:17], v[40:41], s[14:15], v[20:21]
	v_mul_f64 v[10:11], v[10:11], s[18:19]
	v_mul_f64 v[8:9], v[8:9], s[18:19]
	v_fma_f64 v[22:23], v[42:43], s[14:15], v[22:23]
	v_fma_f64 v[42:43], v[42:43], s[22:23], v[86:87]
	v_fma_f64 v[20:21], v[40:41], s[14:15], -v[20:21]
	v_fma_f64 v[40:41], v[40:41], s[22:23], -v[90:91]
	v_fma_f64 v[128:129], v[44:45], s[22:23], v[106:107]
	v_fma_f64 v[116:117], v[46:47], s[22:23], v[116:117]
	v_fma_f64 v[106:107], v[44:45], s[22:23], -v[106:107]
	v_add_f64 v[108:109], v[118:119], v[108:109]
	v_fma_f64 v[86:87], v[46:47], s[14:15], -v[120:121]
	v_add_f64 v[102:103], v[132:133], v[102:103]
	v_add_f64 v[55:56], v[112:113], v[55:56]
	v_mul_f64 v[132:133], v[50:51], s[18:19]
	v_fma_f64 v[112:113], v[14:15], s[0:1], -v[34:35]
	v_fma_f64 v[34:35], v[14:15], s[0:1], v[34:35]
	v_fma_f64 v[118:119], v[38:39], s[0:1], v[32:33]
	v_add_f64 v[57:58], v[59:60], v[57:58]
	v_mul_f64 v[59:60], v[48:49], s[18:19]
	v_fma_f64 v[32:33], v[38:39], s[0:1], -v[32:33]
	v_add_f64 v[36:37], v[36:37], v[78:79]
	v_add_f64 v[16:17], v[16:17], v[76:77]
	v_fma_f64 v[76:77], v[14:15], s[20:21], -v[10:11]
	v_fma_f64 v[78:79], v[38:39], s[20:21], v[8:9]
	v_mul_f64 v[50:51], v[50:51], s[30:31]
	v_mul_f64 v[48:49], v[48:49], s[30:31]
	v_add_f64 v[22:23], v[22:23], v[30:31]
	v_add_f64 v[20:21], v[20:21], v[28:29]
	v_fma_f64 v[10:11], v[14:15], s[20:21], v[10:11]
	v_fma_f64 v[8:9], v[38:39], s[20:21], -v[8:9]
	v_add_f64 v[18:19], v[42:43], v[18:19]
	v_add_f64 v[12:13], v[40:41], v[12:13]
	v_fma_f64 v[14:15], v[14:15], s[8:9], v[98:99]
	v_fma_f64 v[28:29], v[38:39], s[8:9], -v[138:139]
	v_fma_f64 v[90:91], v[44:45], s[14:15], v[126:127]
	v_add_f64 v[30:31], v[110:111], v[100:101]
	v_add_f64 v[42:43], v[134:135], v[26:27]
	v_fma_f64 v[26:27], v[46:47], s[14:15], v[120:121]
	v_fma_f64 v[98:99], v[44:45], s[14:15], -v[126:127]
	v_add_f64 v[100:101], v[112:113], v[108:109]
	v_add_f64 v[55:56], v[118:119], v[55:56]
	v_fma_f64 v[108:109], v[46:47], s[20:21], -v[132:133]
	v_fma_f64 v[110:111], v[44:45], s[20:21], v[59:60]
	v_add_f64 v[34:35], v[34:35], v[102:103]
	v_add_f64 v[57:58], v[32:33], v[57:58]
	v_fma_f64 v[32:33], v[46:47], s[20:21], v[132:133]
	v_fma_f64 v[59:60], v[44:45], s[20:21], -v[59:60]
	v_add_f64 v[76:77], v[76:77], v[36:37]
	v_add_f64 v[78:79], v[78:79], v[16:17]
	;; [unrolled: 8-line block ×3, first 2 shown]
	v_fma_f64 v[46:47], v[46:47], s[0:1], v[114:115]
	v_fma_f64 v[114:115], v[44:45], s[0:1], -v[122:123]
	v_add_f64 v[40:41], v[92:93], v[72:73]
	v_add_f64 v[36:37], v[104:105], v[74:75]
	;; [unrolled: 1-line block ×22, first 2 shown]
	v_mul_u32_u24_e32 v55, 0xd0, v66
	v_cmp_gt_u32_e64 s0, 13, v66
                                        ; implicit-def: $vgpr62_vgpr63
                                        ; implicit-def: $vgpr58_vgpr59
	v_add3_u32 v52, 0, v55, v54
	ds_write_b128 v52, v[0:3]
	ds_write_b128 v52, v[4:7] offset:16
	ds_write_b128 v52, v[36:39] offset:32
	;; [unrolled: 1-line block ×11, first 2 shown]
                                        ; implicit-def: $vgpr54_vgpr55
	ds_write_b128 v52, v[40:43] offset:192
	s_waitcnt lgkmcnt(0)
	s_barrier
	buffer_gl0_inv
	s_and_saveexec_b32 s1, s0
	s_cbranch_execz .LBB0_23
; %bb.22:
	ds_read_b128 v[0:3], v71
	ds_read_b128 v[4:7], v67 offset:208
	ds_read_b128 v[36:39], v67 offset:416
	;; [unrolled: 1-line block ×15, first 2 shown]
.LBB0_23:
	s_or_b32 exec_lo, exec_lo, s1
	s_waitcnt lgkmcnt(0)
	s_barrier
	buffer_gl0_inv
	s_and_saveexec_b32 s8, s0
	s_cbranch_execz .LBB0_25
; %bb.24:
	v_add_nc_u32_e32 v72, -13, v66
	v_mov_b32_e32 v73, 0
	s_mov_b32 s5, 0xbfe6a09e
	s_mov_b32 s6, 0xcf328d46
	;; [unrolled: 1-line block ×3, first 2 shown]
	v_cndmask_b32_e64 v72, v72, v66, s0
	s_mov_b32 s15, 0xbfd87de2
	s_mov_b32 s17, 0xbfed906b
	;; [unrolled: 1-line block ×3, first 2 shown]
	v_mul_i32_i24_e32 v72, 15, v72
	v_lshlrev_b64 v[72:73], 4, v[72:73]
	v_add_co_u32 v128, s0, s12, v72
	v_add_co_ci_u32_e64 v129, s0, s13, v73, s0
	s_mov_b32 s0, 0x667f3bcd
	s_mov_b32 s1, 0x3fe6a09e
	;; [unrolled: 1-line block ×3, first 2 shown]
	s_clause 0xe
	global_load_dwordx4 v[72:75], v[128:129], off offset:16
	global_load_dwordx4 v[76:79], v[128:129], off offset:144
	global_load_dwordx4 v[80:83], v[128:129], off offset:80
	global_load_dwordx4 v[84:87], v[128:129], off offset:208
	global_load_dwordx4 v[88:91], v[128:129], off offset:32
	global_load_dwordx4 v[92:95], v[128:129], off offset:160
	global_load_dwordx4 v[96:99], v[128:129], off offset:96
	global_load_dwordx4 v[100:103], v[128:129], off offset:48
	global_load_dwordx4 v[104:107], v[128:129], off offset:176
	global_load_dwordx4 v[108:111], v[128:129], off offset:112
	global_load_dwordx4 v[112:115], v[128:129], off
	global_load_dwordx4 v[116:119], v[128:129], off offset:128
	global_load_dwordx4 v[120:123], v[128:129], off offset:64
	;; [unrolled: 1-line block ×4, first 2 shown]
	s_mov_b32 s12, 0xa6aea964
	s_mov_b32 s13, 0x3fd87de2
	s_mov_b32 s14, s12
	s_waitcnt vmcnt(14)
	v_mul_f64 v[132:133], v[38:39], v[74:75]
	v_mul_f64 v[74:75], v[36:37], v[74:75]
	s_waitcnt vmcnt(13)
	v_mul_f64 v[134:135], v[50:51], v[78:79]
	v_mul_f64 v[78:79], v[48:49], v[78:79]
	s_waitcnt vmcnt(12)
	v_mul_f64 v[136:137], v[32:33], v[82:83]
	v_mul_f64 v[82:83], v[34:35], v[82:83]
	s_waitcnt vmcnt(11)
	v_mul_f64 v[138:139], v[60:61], v[86:87]
	v_mul_f64 v[86:87], v[62:63], v[86:87]
	s_waitcnt vmcnt(10)
	v_mul_f64 v[140:141], v[14:15], v[90:91]
	v_mul_f64 v[90:91], v[12:13], v[90:91]
	s_waitcnt vmcnt(9)
	v_mul_f64 v[142:143], v[46:47], v[94:95]
	v_mul_f64 v[94:95], v[44:45], v[94:95]
	s_waitcnt vmcnt(8)
	v_mul_f64 v[144:145], v[24:25], v[98:99]
	v_mul_f64 v[98:99], v[26:27], v[98:99]
	s_waitcnt vmcnt(4)
	v_mul_f64 v[146:147], v[6:7], v[114:115]
	s_waitcnt vmcnt(0)
	v_mul_f64 v[148:149], v[56:57], v[130:131]
	v_fma_f64 v[36:37], v[36:37], v[72:73], -v[132:133]
	v_fma_f64 v[38:39], v[38:39], v[72:73], v[74:75]
	v_mul_f64 v[72:73], v[10:11], v[102:103]
	v_mul_f64 v[74:75], v[42:43], v[106:107]
	;; [unrolled: 1-line block ×3, first 2 shown]
	v_fma_f64 v[48:49], v[48:49], v[76:77], -v[134:135]
	v_fma_f64 v[50:51], v[50:51], v[76:77], v[78:79]
	v_mul_f64 v[76:77], v[30:31], v[118:119]
	v_mul_f64 v[78:79], v[16:17], v[122:123]
	;; [unrolled: 1-line block ×3, first 2 shown]
	v_fma_f64 v[34:35], v[34:35], v[80:81], v[136:137]
	v_fma_f64 v[32:33], v[32:33], v[80:81], -v[82:83]
	v_mul_f64 v[80:81], v[58:59], v[130:131]
	v_mul_f64 v[82:83], v[4:5], v[114:115]
	;; [unrolled: 1-line block ×4, first 2 shown]
	v_fma_f64 v[62:63], v[62:63], v[84:85], v[138:139]
	v_fma_f64 v[60:61], v[60:61], v[84:85], -v[86:87]
	v_mul_f64 v[84:85], v[54:55], v[126:127]
	v_mul_f64 v[86:87], v[22:23], v[110:111]
	;; [unrolled: 1-line block ×4, first 2 shown]
	v_fma_f64 v[12:13], v[12:13], v[88:89], -v[140:141]
	v_fma_f64 v[14:15], v[14:15], v[88:89], v[90:91]
	v_fma_f64 v[44:45], v[44:45], v[92:93], -v[142:143]
	v_fma_f64 v[46:47], v[46:47], v[92:93], v[94:95]
	v_fma_f64 v[26:27], v[26:27], v[96:97], v[144:145]
	v_fma_f64 v[24:25], v[24:25], v[96:97], -v[98:99]
	v_fma_f64 v[8:9], v[8:9], v[100:101], -v[72:73]
	v_fma_f64 v[40:41], v[40:41], v[104:105], -v[74:75]
	v_fma_f64 v[22:23], v[22:23], v[108:109], v[132:133]
	v_fma_f64 v[4:5], v[4:5], v[112:113], -v[146:147]
	v_fma_f64 v[28:29], v[28:29], v[116:117], -v[76:77]
	v_fma_f64 v[18:19], v[18:19], v[120:121], v[78:79]
	v_fma_f64 v[54:55], v[54:55], v[124:125], v[134:135]
	;; [unrolled: 1-line block ×3, first 2 shown]
	v_fma_f64 v[56:57], v[56:57], v[128:129], -v[80:81]
	v_fma_f64 v[6:7], v[6:7], v[112:113], v[82:83]
	v_fma_f64 v[30:31], v[30:31], v[116:117], v[114:115]
	v_fma_f64 v[16:17], v[16:17], v[120:121], -v[118:119]
	v_fma_f64 v[52:53], v[52:53], v[124:125], -v[84:85]
	;; [unrolled: 1-line block ×3, first 2 shown]
	v_fma_f64 v[10:11], v[10:11], v[100:101], v[102:103]
	v_fma_f64 v[42:43], v[42:43], v[104:105], v[106:107]
	v_add_f64 v[48:49], v[36:37], -v[48:49]
	v_add_f64 v[62:63], v[34:35], -v[62:63]
	;; [unrolled: 1-line block ×16, first 2 shown]
	v_fma_f64 v[36:37], v[36:37], 2.0, -v[48:49]
	v_add_f64 v[72:73], v[48:49], -v[62:63]
	v_fma_f64 v[38:39], v[38:39], 2.0, -v[50:51]
	v_add_f64 v[74:75], v[50:51], v[60:61]
	v_fma_f64 v[12:13], v[12:13], 2.0, -v[44:45]
	v_fma_f64 v[34:35], v[34:35], 2.0, -v[62:63]
	;; [unrolled: 1-line block ×4, first 2 shown]
	v_add_f64 v[76:77], v[22:23], v[40:41]
	v_fma_f64 v[2:3], v[2:3], 2.0, -v[22:23]
	v_fma_f64 v[4:5], v[4:5], 2.0, -v[28:29]
	;; [unrolled: 1-line block ×3, first 2 shown]
	v_add_f64 v[78:79], v[28:29], -v[54:55]
	v_add_f64 v[80:81], v[44:45], -v[58:59]
	v_add_f64 v[82:83], v[46:47], v[56:57]
	v_fma_f64 v[24:25], v[24:25], 2.0, -v[56:57]
	v_fma_f64 v[6:7], v[6:7], 2.0, -v[30:31]
	;; [unrolled: 1-line block ×3, first 2 shown]
	v_add_f64 v[84:85], v[30:31], v[52:53]
	v_fma_f64 v[16:17], v[16:17], 2.0, -v[52:53]
	v_fma_f64 v[0:1], v[0:1], 2.0, -v[20:21]
	v_add_f64 v[86:87], v[20:21], -v[42:43]
	v_fma_f64 v[10:11], v[10:11], 2.0, -v[42:43]
	v_fma_f64 v[26:27], v[26:27], 2.0, -v[58:59]
	;; [unrolled: 1-line block ×4, first 2 shown]
	v_add_f64 v[34:35], v[38:39], -v[34:35]
	v_add_f64 v[32:33], v[36:37], -v[32:33]
	v_fma_f64 v[22:23], v[22:23], 2.0, -v[76:77]
	v_fma_f64 v[48:49], v[74:75], s[0:1], v[76:77]
	v_fma_f64 v[28:29], v[28:29], 2.0, -v[78:79]
	v_fma_f64 v[44:45], v[44:45], 2.0, -v[80:81]
	;; [unrolled: 1-line block ×3, first 2 shown]
	v_add_f64 v[24:25], v[12:13], -v[24:25]
	v_fma_f64 v[52:53], v[80:81], s[0:1], v[78:79]
	v_add_f64 v[18:19], v[6:7], -v[18:19]
	v_fma_f64 v[30:31], v[30:31], 2.0, -v[84:85]
	v_add_f64 v[16:17], v[4:5], -v[16:17]
	v_add_f64 v[8:9], v[0:1], -v[8:9]
	v_fma_f64 v[20:21], v[20:21], 2.0, -v[86:87]
	v_add_f64 v[10:11], v[2:3], -v[10:11]
	v_fma_f64 v[50:51], v[82:83], s[0:1], v[84:85]
	v_add_f64 v[26:27], v[14:15], -v[26:27]
	v_fma_f64 v[54:55], v[72:73], s[0:1], v[86:87]
	v_fma_f64 v[38:39], v[38:39], 2.0, -v[34:35]
	v_fma_f64 v[36:37], v[36:37], 2.0, -v[32:33]
	v_fma_f64 v[56:57], v[42:43], s[4:5], v[22:23]
	v_fma_f64 v[48:49], v[72:73], s[0:1], v[48:49]
	;; [unrolled: 1-line block ×3, first 2 shown]
	v_fma_f64 v[12:13], v[12:13], 2.0, -v[24:25]
	v_fma_f64 v[52:53], v[82:83], s[4:5], v[52:53]
	v_fma_f64 v[6:7], v[6:7], 2.0, -v[18:19]
	v_fma_f64 v[60:61], v[46:47], s[4:5], v[30:31]
	v_fma_f64 v[4:5], v[4:5], 2.0, -v[16:17]
	v_fma_f64 v[0:1], v[0:1], 2.0, -v[8:9]
	v_fma_f64 v[62:63], v[40:41], s[4:5], v[20:21]
	v_fma_f64 v[2:3], v[2:3], 2.0, -v[10:11]
	v_fma_f64 v[50:51], v[80:81], s[0:1], v[50:51]
	v_fma_f64 v[14:15], v[14:15], 2.0, -v[26:27]
	v_add_f64 v[32:33], v[10:11], v[32:33]
	v_add_f64 v[24:25], v[18:19], v[24:25]
	v_add_f64 v[26:27], v[16:17], -v[26:27]
	v_add_f64 v[72:73], v[8:9], -v[34:35]
	v_fma_f64 v[54:55], v[74:75], s[4:5], v[54:55]
	v_fma_f64 v[56:57], v[40:41], s[0:1], v[56:57]
	;; [unrolled: 1-line block ×3, first 2 shown]
	v_fma_f64 v[58:59], v[76:77], 2.0, -v[48:49]
	v_fma_f64 v[40:41], v[44:45], s[0:1], v[60:61]
	v_add_f64 v[12:13], v[4:5], -v[12:13]
	v_add_f64 v[36:37], v[0:1], -v[36:37]
	v_fma_f64 v[44:45], v[42:43], s[4:5], v[62:63]
	v_add_f64 v[42:43], v[2:3], -v[38:39]
	v_fma_f64 v[38:39], v[84:85], 2.0, -v[50:51]
	v_add_f64 v[14:15], v[6:7], -v[14:15]
	v_fma_f64 v[60:61], v[10:11], 2.0, -v[32:33]
	v_fma_f64 v[46:47], v[18:19], 2.0, -v[24:25]
	;; [unrolled: 1-line block ×7, first 2 shown]
	v_fma_f64 v[8:9], v[50:51], s[6:7], v[48:49]
	v_fma_f64 v[10:11], v[24:25], s[0:1], v[32:33]
	;; [unrolled: 1-line block ×3, first 2 shown]
	v_fma_f64 v[28:29], v[28:29], 2.0, -v[34:35]
	v_fma_f64 v[78:79], v[30:31], 2.0, -v[40:41]
	v_fma_f64 v[30:31], v[40:41], s[12:13], v[56:57]
	v_fma_f64 v[90:91], v[0:1], 2.0, -v[36:37]
	v_fma_f64 v[80:81], v[20:21], 2.0, -v[44:45]
	v_fma_f64 v[20:21], v[52:53], s[6:7], v[54:55]
	v_fma_f64 v[82:83], v[38:39], s[14:15], v[58:59]
	v_fma_f64 v[86:87], v[2:3], 2.0, -v[42:43]
	v_fma_f64 v[88:89], v[6:7], 2.0, -v[14:15]
	;; [unrolled: 1-line block ×3, first 2 shown]
	v_fma_f64 v[84:85], v[46:47], s[4:5], v[60:61]
	v_fma_f64 v[94:95], v[16:17], s[4:5], v[74:75]
	;; [unrolled: 1-line block ×6, first 2 shown]
	v_add_f64 v[10:11], v[42:43], v[12:13]
	v_add_f64 v[8:9], v[36:37], -v[14:15]
	v_fma_f64 v[4:5], v[24:25], s[4:5], v[22:23]
	v_fma_f64 v[100:101], v[78:79], s[16:17], v[76:77]
	;; [unrolled: 1-line block ×6, first 2 shown]
	v_add_f64 v[26:27], v[86:87], -v[88:89]
	v_add_f64 v[24:25], v[90:91], -v[92:93]
	v_fma_f64 v[22:23], v[16:17], s[0:1], v[84:85]
	v_fma_f64 v[20:21], v[46:47], s[4:5], v[94:95]
	v_fma_f64 v[12:13], v[40:41], s[16:17], v[98:99]
	v_fma_f64 v[16:17], v[38:39], s[16:17], v[96:97]
	v_fma_f64 v[34:35], v[48:49], 2.0, -v[2:3]
	v_fma_f64 v[38:39], v[32:33], 2.0, -v[6:7]
	;; [unrolled: 1-line block ×5, first 2 shown]
	v_fma_f64 v[30:31], v[28:29], s[12:13], v[100:101]
	v_fma_f64 v[46:47], v[56:57], 2.0, -v[14:15]
	v_fma_f64 v[28:29], v[78:79], s[14:15], v[102:103]
	v_fma_f64 v[32:33], v[54:55], 2.0, -v[0:1]
	v_fma_f64 v[50:51], v[58:59], 2.0, -v[18:19]
	;; [unrolled: 1-line block ×10, first 2 shown]
	ds_write_b128 v67, v[8:11] offset:2496
	ds_write_b128 v67, v[4:7] offset:2912
	;; [unrolled: 1-line block ×9, first 2 shown]
	ds_write_b128 v71, v[56:59]
	ds_write_b128 v67, v[52:55] offset:416
	ds_write_b128 v67, v[48:51] offset:624
	;; [unrolled: 1-line block ×6, first 2 shown]
.LBB0_25:
	s_or_b32 exec_lo, exec_lo, s8
	s_waitcnt lgkmcnt(0)
	s_barrier
	buffer_gl0_inv
	s_and_saveexec_b32 s0, vcc_lo
	s_cbranch_execz .LBB0_27
; %bb.26:
	v_mul_lo_u32 v2, s3, v68
	v_mul_lo_u32 v3, s2, v69
	v_mad_u64_u32 v[0:1], null, s2, v68, 0
	v_mov_b32_e32 v67, 0
	v_lshlrev_b64 v[8:9], 4, v[64:65]
	v_lshl_add_u32 v28, v66, 4, v70
	v_add_nc_u32_e32 v10, 16, v66
	v_add_nc_u32_e32 v12, 32, v66
	v_lshlrev_b64 v[14:15], 4, v[66:67]
	v_add3_u32 v1, v1, v3, v2
	v_mov_b32_e32 v11, v67
	v_mov_b32_e32 v13, v67
	v_add_nc_u32_e32 v22, 48, v66
	v_mov_b32_e32 v23, v67
	v_lshlrev_b64 v[16:17], 4, v[0:1]
	ds_read_b128 v[0:3], v28
	ds_read_b128 v[4:7], v28 offset:256
	v_add_nc_u32_e32 v24, 64, v66
	v_mov_b32_e32 v25, v67
	v_lshlrev_b64 v[22:23], 4, v[22:23]
	v_add_co_u32 v18, vcc_lo, s10, v16
	v_add_co_ci_u32_e32 v19, vcc_lo, s11, v17, vcc_lo
	v_lshlrev_b64 v[16:17], 4, v[10:11]
	v_add_co_u32 v30, vcc_lo, v18, v8
	v_add_co_ci_u32_e32 v31, vcc_lo, v19, v9, vcc_lo
	;; [unrolled: 3-line block ×3, first 2 shown]
	ds_read_b128 v[8:11], v28 offset:512
	ds_read_b128 v[12:15], v28 offset:768
	v_add_co_u32 v16, vcc_lo, v30, v16
	v_add_co_ci_u32_e32 v17, vcc_lo, v31, v17, vcc_lo
	v_add_co_u32 v18, vcc_lo, v30, v18
	v_add_co_ci_u32_e32 v19, vcc_lo, v31, v19, vcc_lo
	;; [unrolled: 2-line block ×3, first 2 shown]
	s_waitcnt lgkmcnt(3)
	global_store_dwordx4 v[20:21], v[0:3], off
	s_waitcnt lgkmcnt(2)
	global_store_dwordx4 v[16:17], v[4:7], off
	;; [unrolled: 2-line block ×4, first 2 shown]
	v_lshlrev_b64 v[0:1], 4, v[24:25]
	v_add_nc_u32_e32 v8, 0x50, v66
	v_mov_b32_e32 v9, v67
	v_add_nc_u32_e32 v10, 0x60, v66
	v_mov_b32_e32 v11, v67
	v_add_nc_u32_e32 v22, 0x70, v66
	v_add_co_u32 v16, vcc_lo, v30, v0
	v_add_co_ci_u32_e32 v17, vcc_lo, v31, v1, vcc_lo
	ds_read_b128 v[0:3], v28 offset:1024
	ds_read_b128 v[4:7], v28 offset:1280
	v_lshlrev_b64 v[18:19], 4, v[8:9]
	v_lshlrev_b64 v[20:21], 4, v[10:11]
	ds_read_b128 v[8:11], v28 offset:1536
	ds_read_b128 v[12:15], v28 offset:1792
	v_mov_b32_e32 v23, v67
	v_add_nc_u32_e32 v24, 0x80, v66
	v_add_co_u32 v18, vcc_lo, v30, v18
	v_lshlrev_b64 v[22:23], 4, v[22:23]
	v_add_co_ci_u32_e32 v19, vcc_lo, v31, v19, vcc_lo
	v_add_co_u32 v20, vcc_lo, v30, v20
	v_add_co_ci_u32_e32 v21, vcc_lo, v31, v21, vcc_lo
	v_add_co_u32 v22, vcc_lo, v30, v22
	s_waitcnt lgkmcnt(3)
	global_store_dwordx4 v[16:17], v[0:3], off
	s_waitcnt lgkmcnt(2)
	global_store_dwordx4 v[18:19], v[4:7], off
	v_add_nc_u32_e32 v2, 0x90, v66
	v_mov_b32_e32 v3, v67
	v_add_co_ci_u32_e32 v23, vcc_lo, v31, v23, vcc_lo
	v_lshlrev_b64 v[0:1], 4, v[24:25]
	s_waitcnt lgkmcnt(1)
	global_store_dwordx4 v[20:21], v[8:11], off
	s_waitcnt lgkmcnt(0)
	global_store_dwordx4 v[22:23], v[12:15], off
	v_lshlrev_b64 v[8:9], 4, v[2:3]
	v_add_nc_u32_e32 v10, 0xa0, v66
	v_mov_b32_e32 v11, v67
	v_add_co_u32 v20, vcc_lo, v30, v0
	v_add_co_ci_u32_e32 v21, vcc_lo, v31, v1, vcc_lo
	v_add_co_u32 v22, vcc_lo, v30, v8
	ds_read_b128 v[0:3], v28 offset:2048
	ds_read_b128 v[4:7], v28 offset:2304
	v_add_co_ci_u32_e32 v23, vcc_lo, v31, v9, vcc_lo
	v_lshlrev_b64 v[26:27], 4, v[10:11]
	ds_read_b128 v[8:11], v28 offset:2560
	ds_read_b128 v[12:15], v28 offset:2816
	;; [unrolled: 1-line block ×3, first 2 shown]
	v_add_nc_u32_e32 v24, 0xb0, v66
	v_add_nc_u32_e32 v66, 0xc0, v66
	v_add_co_u32 v26, vcc_lo, v30, v26
	v_lshlrev_b64 v[24:25], 4, v[24:25]
	v_lshlrev_b64 v[28:29], 4, v[66:67]
	v_add_co_ci_u32_e32 v27, vcc_lo, v31, v27, vcc_lo
	v_add_co_u32 v24, vcc_lo, v30, v24
	v_add_co_ci_u32_e32 v25, vcc_lo, v31, v25, vcc_lo
	v_add_co_u32 v28, vcc_lo, v30, v28
	v_add_co_ci_u32_e32 v29, vcc_lo, v31, v29, vcc_lo
	s_waitcnt lgkmcnt(4)
	global_store_dwordx4 v[20:21], v[0:3], off
	s_waitcnt lgkmcnt(3)
	global_store_dwordx4 v[22:23], v[4:7], off
	;; [unrolled: 2-line block ×5, first 2 shown]
.LBB0_27:
	s_endpgm
	.section	.rodata,"a",@progbits
	.p2align	6, 0x0
	.amdhsa_kernel fft_rtc_fwd_len208_factors_13_16_wgs_64_tpt_16_halfLds_dp_op_CI_CI_unitstride_sbrr_C2R_dirReg
		.amdhsa_group_segment_fixed_size 0
		.amdhsa_private_segment_fixed_size 0
		.amdhsa_kernarg_size 104
		.amdhsa_user_sgpr_count 6
		.amdhsa_user_sgpr_private_segment_buffer 1
		.amdhsa_user_sgpr_dispatch_ptr 0
		.amdhsa_user_sgpr_queue_ptr 0
		.amdhsa_user_sgpr_kernarg_segment_ptr 1
		.amdhsa_user_sgpr_dispatch_id 0
		.amdhsa_user_sgpr_flat_scratch_init 0
		.amdhsa_user_sgpr_private_segment_size 0
		.amdhsa_wavefront_size32 1
		.amdhsa_uses_dynamic_stack 0
		.amdhsa_system_sgpr_private_segment_wavefront_offset 0
		.amdhsa_system_sgpr_workgroup_id_x 1
		.amdhsa_system_sgpr_workgroup_id_y 0
		.amdhsa_system_sgpr_workgroup_id_z 0
		.amdhsa_system_sgpr_workgroup_info 0
		.amdhsa_system_vgpr_workitem_id 0
		.amdhsa_next_free_vgpr 150
		.amdhsa_next_free_sgpr 36
		.amdhsa_reserve_vcc 1
		.amdhsa_reserve_flat_scratch 0
		.amdhsa_float_round_mode_32 0
		.amdhsa_float_round_mode_16_64 0
		.amdhsa_float_denorm_mode_32 3
		.amdhsa_float_denorm_mode_16_64 3
		.amdhsa_dx10_clamp 1
		.amdhsa_ieee_mode 1
		.amdhsa_fp16_overflow 0
		.amdhsa_workgroup_processor_mode 1
		.amdhsa_memory_ordered 1
		.amdhsa_forward_progress 0
		.amdhsa_shared_vgpr_count 0
		.amdhsa_exception_fp_ieee_invalid_op 0
		.amdhsa_exception_fp_denorm_src 0
		.amdhsa_exception_fp_ieee_div_zero 0
		.amdhsa_exception_fp_ieee_overflow 0
		.amdhsa_exception_fp_ieee_underflow 0
		.amdhsa_exception_fp_ieee_inexact 0
		.amdhsa_exception_int_div_zero 0
	.end_amdhsa_kernel
	.text
.Lfunc_end0:
	.size	fft_rtc_fwd_len208_factors_13_16_wgs_64_tpt_16_halfLds_dp_op_CI_CI_unitstride_sbrr_C2R_dirReg, .Lfunc_end0-fft_rtc_fwd_len208_factors_13_16_wgs_64_tpt_16_halfLds_dp_op_CI_CI_unitstride_sbrr_C2R_dirReg
                                        ; -- End function
	.section	.AMDGPU.csdata,"",@progbits
; Kernel info:
; codeLenInByte = 9852
; NumSgprs: 38
; NumVgprs: 150
; ScratchSize: 0
; MemoryBound: 0
; FloatMode: 240
; IeeeMode: 1
; LDSByteSize: 0 bytes/workgroup (compile time only)
; SGPRBlocks: 4
; VGPRBlocks: 18
; NumSGPRsForWavesPerEU: 38
; NumVGPRsForWavesPerEU: 150
; Occupancy: 6
; WaveLimiterHint : 1
; COMPUTE_PGM_RSRC2:SCRATCH_EN: 0
; COMPUTE_PGM_RSRC2:USER_SGPR: 6
; COMPUTE_PGM_RSRC2:TRAP_HANDLER: 0
; COMPUTE_PGM_RSRC2:TGID_X_EN: 1
; COMPUTE_PGM_RSRC2:TGID_Y_EN: 0
; COMPUTE_PGM_RSRC2:TGID_Z_EN: 0
; COMPUTE_PGM_RSRC2:TIDIG_COMP_CNT: 0
	.text
	.p2alignl 6, 3214868480
	.fill 48, 4, 3214868480
	.type	__hip_cuid_445866f9a7ca723a,@object ; @__hip_cuid_445866f9a7ca723a
	.section	.bss,"aw",@nobits
	.globl	__hip_cuid_445866f9a7ca723a
__hip_cuid_445866f9a7ca723a:
	.byte	0                               ; 0x0
	.size	__hip_cuid_445866f9a7ca723a, 1

	.ident	"AMD clang version 19.0.0git (https://github.com/RadeonOpenCompute/llvm-project roc-6.4.0 25133 c7fe45cf4b819c5991fe208aaa96edf142730f1d)"
	.section	".note.GNU-stack","",@progbits
	.addrsig
	.addrsig_sym __hip_cuid_445866f9a7ca723a
	.amdgpu_metadata
---
amdhsa.kernels:
  - .args:
      - .actual_access:  read_only
        .address_space:  global
        .offset:         0
        .size:           8
        .value_kind:     global_buffer
      - .offset:         8
        .size:           8
        .value_kind:     by_value
      - .actual_access:  read_only
        .address_space:  global
        .offset:         16
        .size:           8
        .value_kind:     global_buffer
      - .actual_access:  read_only
        .address_space:  global
        .offset:         24
        .size:           8
        .value_kind:     global_buffer
      - .actual_access:  read_only
        .address_space:  global
        .offset:         32
        .size:           8
        .value_kind:     global_buffer
      - .offset:         40
        .size:           8
        .value_kind:     by_value
      - .actual_access:  read_only
        .address_space:  global
        .offset:         48
        .size:           8
        .value_kind:     global_buffer
      - .actual_access:  read_only
        .address_space:  global
        .offset:         56
        .size:           8
        .value_kind:     global_buffer
      - .offset:         64
        .size:           4
        .value_kind:     by_value
      - .actual_access:  read_only
        .address_space:  global
        .offset:         72
        .size:           8
        .value_kind:     global_buffer
      - .actual_access:  read_only
        .address_space:  global
        .offset:         80
        .size:           8
        .value_kind:     global_buffer
      - .actual_access:  read_only
        .address_space:  global
        .offset:         88
        .size:           8
        .value_kind:     global_buffer
      - .actual_access:  write_only
        .address_space:  global
        .offset:         96
        .size:           8
        .value_kind:     global_buffer
    .group_segment_fixed_size: 0
    .kernarg_segment_align: 8
    .kernarg_segment_size: 104
    .language:       OpenCL C
    .language_version:
      - 2
      - 0
    .max_flat_workgroup_size: 64
    .name:           fft_rtc_fwd_len208_factors_13_16_wgs_64_tpt_16_halfLds_dp_op_CI_CI_unitstride_sbrr_C2R_dirReg
    .private_segment_fixed_size: 0
    .sgpr_count:     38
    .sgpr_spill_count: 0
    .symbol:         fft_rtc_fwd_len208_factors_13_16_wgs_64_tpt_16_halfLds_dp_op_CI_CI_unitstride_sbrr_C2R_dirReg.kd
    .uniform_work_group_size: 1
    .uses_dynamic_stack: false
    .vgpr_count:     150
    .vgpr_spill_count: 0
    .wavefront_size: 32
    .workgroup_processor_mode: 1
amdhsa.target:   amdgcn-amd-amdhsa--gfx1030
amdhsa.version:
  - 1
  - 2
...

	.end_amdgpu_metadata
